;; amdgpu-corpus repo=ROCm/rocFFT kind=compiled arch=gfx1030 opt=O3
	.text
	.amdgcn_target "amdgcn-amd-amdhsa--gfx1030"
	.amdhsa_code_object_version 6
	.protected	fft_rtc_fwd_len858_factors_13_11_6_wgs_234_tpt_78_halfLds_dp_op_CI_CI_unitstride_sbrr_C2R_dirReg ; -- Begin function fft_rtc_fwd_len858_factors_13_11_6_wgs_234_tpt_78_halfLds_dp_op_CI_CI_unitstride_sbrr_C2R_dirReg
	.globl	fft_rtc_fwd_len858_factors_13_11_6_wgs_234_tpt_78_halfLds_dp_op_CI_CI_unitstride_sbrr_C2R_dirReg
	.p2align	8
	.type	fft_rtc_fwd_len858_factors_13_11_6_wgs_234_tpt_78_halfLds_dp_op_CI_CI_unitstride_sbrr_C2R_dirReg,@function
fft_rtc_fwd_len858_factors_13_11_6_wgs_234_tpt_78_halfLds_dp_op_CI_CI_unitstride_sbrr_C2R_dirReg: ; @fft_rtc_fwd_len858_factors_13_11_6_wgs_234_tpt_78_halfLds_dp_op_CI_CI_unitstride_sbrr_C2R_dirReg
; %bb.0:
	s_load_dwordx4 s[12:15], s[4:5], 0x0
	v_mul_u32_u24_e32 v1, 0x349, v0
	s_clause 0x1
	s_load_dwordx4 s[8:11], s[4:5], 0x58
	s_load_dwordx4 s[16:19], s[4:5], 0x18
	v_mov_b32_e32 v5, 0
	v_lshrrev_b32_e32 v3, 16, v1
	v_mov_b32_e32 v1, 0
	v_mov_b32_e32 v2, 0
	v_mad_u64_u32 v[3:4], null, s6, 3, v[3:4]
	v_mov_b32_e32 v4, v5
	v_mov_b32_e32 v89, v2
	;; [unrolled: 1-line block ×5, first 2 shown]
	s_waitcnt lgkmcnt(0)
	v_cmp_lt_u64_e64 s0, s[14:15], 2
	s_and_b32 vcc_lo, exec_lo, s0
	s_cbranch_vccnz .LBB0_8
; %bb.1:
	s_load_dwordx2 s[0:1], s[4:5], 0x10
	v_mov_b32_e32 v1, 0
	v_mov_b32_e32 v2, 0
	s_add_u32 s2, s18, 8
	v_mov_b32_e32 v8, v4
	s_addc_u32 s3, s19, 0
	v_mov_b32_e32 v7, v3
	v_mov_b32_e32 v89, v2
	s_add_u32 s6, s16, 8
	v_mov_b32_e32 v88, v1
	s_addc_u32 s7, s17, 0
	s_mov_b64 s[22:23], 1
	s_waitcnt lgkmcnt(0)
	s_add_u32 s20, s0, 8
	s_addc_u32 s21, s1, 0
.LBB0_2:                                ; =>This Inner Loop Header: Depth=1
	s_load_dwordx2 s[24:25], s[20:21], 0x0
                                        ; implicit-def: $vgpr90_vgpr91
	s_mov_b32 s0, exec_lo
	s_waitcnt lgkmcnt(0)
	v_or_b32_e32 v6, s25, v8
	v_cmpx_ne_u64_e32 0, v[5:6]
	s_xor_b32 s1, exec_lo, s0
	s_cbranch_execz .LBB0_4
; %bb.3:                                ;   in Loop: Header=BB0_2 Depth=1
	v_cvt_f32_u32_e32 v4, s24
	v_cvt_f32_u32_e32 v6, s25
	s_sub_u32 s0, 0, s24
	s_subb_u32 s26, 0, s25
	v_fmac_f32_e32 v4, 0x4f800000, v6
	v_rcp_f32_e32 v4, v4
	v_mul_f32_e32 v4, 0x5f7ffffc, v4
	v_mul_f32_e32 v6, 0x2f800000, v4
	v_trunc_f32_e32 v6, v6
	v_fmac_f32_e32 v4, 0xcf800000, v6
	v_cvt_u32_f32_e32 v6, v6
	v_cvt_u32_f32_e32 v4, v4
	v_mul_lo_u32 v9, s0, v6
	v_mul_hi_u32 v10, s0, v4
	v_mul_lo_u32 v11, s26, v4
	v_add_nc_u32_e32 v9, v10, v9
	v_mul_lo_u32 v10, s0, v4
	v_add_nc_u32_e32 v9, v9, v11
	v_mul_hi_u32 v11, v4, v10
	v_mul_lo_u32 v12, v4, v9
	v_mul_hi_u32 v13, v4, v9
	v_mul_hi_u32 v14, v6, v10
	v_mul_lo_u32 v10, v6, v10
	v_mul_hi_u32 v15, v6, v9
	v_mul_lo_u32 v9, v6, v9
	v_add_co_u32 v11, vcc_lo, v11, v12
	v_add_co_ci_u32_e32 v12, vcc_lo, 0, v13, vcc_lo
	v_add_co_u32 v10, vcc_lo, v11, v10
	v_add_co_ci_u32_e32 v10, vcc_lo, v12, v14, vcc_lo
	v_add_co_ci_u32_e32 v11, vcc_lo, 0, v15, vcc_lo
	v_add_co_u32 v9, vcc_lo, v10, v9
	v_add_co_ci_u32_e32 v10, vcc_lo, 0, v11, vcc_lo
	v_add_co_u32 v4, vcc_lo, v4, v9
	v_add_co_ci_u32_e32 v6, vcc_lo, v6, v10, vcc_lo
	v_mul_hi_u32 v9, s0, v4
	v_mul_lo_u32 v11, s26, v4
	v_mul_lo_u32 v10, s0, v6
	v_add_nc_u32_e32 v9, v9, v10
	v_mul_lo_u32 v10, s0, v4
	v_add_nc_u32_e32 v9, v9, v11
	v_mul_hi_u32 v11, v4, v10
	v_mul_lo_u32 v12, v4, v9
	v_mul_hi_u32 v13, v4, v9
	v_mul_hi_u32 v14, v6, v10
	v_mul_lo_u32 v10, v6, v10
	v_mul_hi_u32 v15, v6, v9
	v_mul_lo_u32 v9, v6, v9
	v_add_co_u32 v11, vcc_lo, v11, v12
	v_add_co_ci_u32_e32 v12, vcc_lo, 0, v13, vcc_lo
	v_add_co_u32 v10, vcc_lo, v11, v10
	v_add_co_ci_u32_e32 v10, vcc_lo, v12, v14, vcc_lo
	v_add_co_ci_u32_e32 v11, vcc_lo, 0, v15, vcc_lo
	v_add_co_u32 v9, vcc_lo, v10, v9
	v_add_co_ci_u32_e32 v10, vcc_lo, 0, v11, vcc_lo
	v_add_co_u32 v4, vcc_lo, v4, v9
	v_add_co_ci_u32_e32 v6, vcc_lo, v6, v10, vcc_lo
	v_mul_hi_u32 v15, v7, v4
	v_mad_u64_u32 v[11:12], null, v8, v4, 0
	v_mad_u64_u32 v[9:10], null, v7, v6, 0
	;; [unrolled: 1-line block ×3, first 2 shown]
	v_add_co_u32 v4, vcc_lo, v15, v9
	v_add_co_ci_u32_e32 v6, vcc_lo, 0, v10, vcc_lo
	v_add_co_u32 v4, vcc_lo, v4, v11
	v_add_co_ci_u32_e32 v4, vcc_lo, v6, v12, vcc_lo
	v_add_co_ci_u32_e32 v6, vcc_lo, 0, v14, vcc_lo
	v_add_co_u32 v4, vcc_lo, v4, v13
	v_add_co_ci_u32_e32 v6, vcc_lo, 0, v6, vcc_lo
	v_mul_lo_u32 v11, s25, v4
	v_mad_u64_u32 v[9:10], null, s24, v4, 0
	v_mul_lo_u32 v12, s24, v6
	v_sub_co_u32 v9, vcc_lo, v7, v9
	v_add3_u32 v10, v10, v12, v11
	v_sub_nc_u32_e32 v11, v8, v10
	v_subrev_co_ci_u32_e64 v11, s0, s25, v11, vcc_lo
	v_add_co_u32 v12, s0, v4, 2
	v_add_co_ci_u32_e64 v13, s0, 0, v6, s0
	v_sub_co_u32 v14, s0, v9, s24
	v_sub_co_ci_u32_e32 v10, vcc_lo, v8, v10, vcc_lo
	v_subrev_co_ci_u32_e64 v11, s0, 0, v11, s0
	v_cmp_le_u32_e32 vcc_lo, s24, v14
	v_cmp_eq_u32_e64 s0, s25, v10
	v_cndmask_b32_e64 v14, 0, -1, vcc_lo
	v_cmp_le_u32_e32 vcc_lo, s25, v11
	v_cndmask_b32_e64 v15, 0, -1, vcc_lo
	v_cmp_le_u32_e32 vcc_lo, s24, v9
	;; [unrolled: 2-line block ×3, first 2 shown]
	v_cndmask_b32_e64 v16, 0, -1, vcc_lo
	v_cmp_eq_u32_e32 vcc_lo, s25, v11
	v_cndmask_b32_e64 v9, v16, v9, s0
	v_cndmask_b32_e32 v11, v15, v14, vcc_lo
	v_add_co_u32 v14, vcc_lo, v4, 1
	v_add_co_ci_u32_e32 v15, vcc_lo, 0, v6, vcc_lo
	v_cmp_ne_u32_e32 vcc_lo, 0, v11
	v_cndmask_b32_e32 v10, v15, v13, vcc_lo
	v_cndmask_b32_e32 v11, v14, v12, vcc_lo
	v_cmp_ne_u32_e32 vcc_lo, 0, v9
	v_cndmask_b32_e32 v91, v6, v10, vcc_lo
	v_cndmask_b32_e32 v90, v4, v11, vcc_lo
.LBB0_4:                                ;   in Loop: Header=BB0_2 Depth=1
	s_andn2_saveexec_b32 s0, s1
	s_cbranch_execz .LBB0_6
; %bb.5:                                ;   in Loop: Header=BB0_2 Depth=1
	v_cvt_f32_u32_e32 v4, s24
	s_sub_i32 s1, 0, s24
	v_mov_b32_e32 v91, v5
	v_rcp_iflag_f32_e32 v4, v4
	v_mul_f32_e32 v4, 0x4f7ffffe, v4
	v_cvt_u32_f32_e32 v4, v4
	v_mul_lo_u32 v6, s1, v4
	v_mul_hi_u32 v6, v4, v6
	v_add_nc_u32_e32 v4, v4, v6
	v_mul_hi_u32 v4, v7, v4
	v_mul_lo_u32 v6, v4, s24
	v_add_nc_u32_e32 v9, 1, v4
	v_sub_nc_u32_e32 v6, v7, v6
	v_subrev_nc_u32_e32 v10, s24, v6
	v_cmp_le_u32_e32 vcc_lo, s24, v6
	v_cndmask_b32_e32 v6, v6, v10, vcc_lo
	v_cndmask_b32_e32 v4, v4, v9, vcc_lo
	v_cmp_le_u32_e32 vcc_lo, s24, v6
	v_add_nc_u32_e32 v9, 1, v4
	v_cndmask_b32_e32 v90, v4, v9, vcc_lo
.LBB0_6:                                ;   in Loop: Header=BB0_2 Depth=1
	s_or_b32 exec_lo, exec_lo, s0
	v_mul_lo_u32 v4, v91, s24
	v_mul_lo_u32 v6, v90, s25
	s_load_dwordx2 s[0:1], s[6:7], 0x0
	v_mad_u64_u32 v[9:10], null, v90, s24, 0
	s_load_dwordx2 s[24:25], s[2:3], 0x0
	s_add_u32 s22, s22, 1
	s_addc_u32 s23, s23, 0
	s_add_u32 s2, s2, 8
	s_addc_u32 s3, s3, 0
	s_add_u32 s6, s6, 8
	v_add3_u32 v4, v10, v6, v4
	v_sub_co_u32 v6, vcc_lo, v7, v9
	s_addc_u32 s7, s7, 0
	s_add_u32 s20, s20, 8
	v_sub_co_ci_u32_e32 v4, vcc_lo, v8, v4, vcc_lo
	s_addc_u32 s21, s21, 0
	s_waitcnt lgkmcnt(0)
	v_mul_lo_u32 v7, s0, v4
	v_mul_lo_u32 v8, s1, v6
	v_mad_u64_u32 v[1:2], null, s0, v6, v[1:2]
	v_mul_lo_u32 v4, s24, v4
	v_mul_lo_u32 v9, s25, v6
	v_mad_u64_u32 v[88:89], null, s24, v6, v[88:89]
	v_cmp_ge_u64_e64 s0, s[22:23], s[14:15]
	v_add3_u32 v2, v8, v2, v7
	v_add3_u32 v89, v9, v89, v4
	s_and_b32 vcc_lo, exec_lo, s0
	s_cbranch_vccnz .LBB0_8
; %bb.7:                                ;   in Loop: Header=BB0_2 Depth=1
	v_mov_b32_e32 v7, v90
	v_mov_b32_e32 v8, v91
	s_branch .LBB0_2
.LBB0_8:
	s_load_dwordx2 s[0:1], s[4:5], 0x28
	v_mul_hi_u32 v4, 0xaaaaaaab, v3
	s_lshl_b64 s[4:5], s[14:15], 3
                                        ; implicit-def: $vgpr92
	s_add_u32 s2, s18, s4
	s_addc_u32 s3, s19, s5
	v_lshrrev_b32_e32 v4, 1, v4
	v_lshl_add_u32 v5, v4, 1, v4
	v_mul_hi_u32 v4, 0x3483484, v0
	v_sub_nc_u32_e32 v3, v3, v5
	s_waitcnt lgkmcnt(0)
	v_cmp_gt_u64_e32 vcc_lo, s[0:1], v[90:91]
	v_cmp_le_u64_e64 s0, s[0:1], v[90:91]
	s_and_saveexec_b32 s1, s0
	s_xor_b32 s0, exec_lo, s1
; %bb.9:
	v_mul_u32_u24_e32 v1, 0x4e, v4
                                        ; implicit-def: $vgpr4
	v_sub_nc_u32_e32 v92, v0, v1
                                        ; implicit-def: $vgpr0
                                        ; implicit-def: $vgpr1_vgpr2
; %bb.10:
	s_or_saveexec_b32 s1, s0
	s_load_dwordx2 s[2:3], s[2:3], 0x0
	v_mul_u32_u24_e32 v3, 0x35b, v3
	v_lshlrev_b32_e32 v135, 4, v3
	s_xor_b32 exec_lo, exec_lo, s1
	s_cbranch_execz .LBB0_14
; %bb.11:
	s_add_u32 s4, s16, s4
	s_addc_u32 s5, s17, s5
	v_lshlrev_b64 v[1:2], 4, v[1:2]
	s_load_dwordx2 s[4:5], s[4:5], 0x0
	s_waitcnt lgkmcnt(0)
	v_mul_lo_u32 v7, s5, v90
	v_mul_lo_u32 v8, s4, v91
	v_mad_u64_u32 v[5:6], null, s4, v90, 0
	s_mov_b32 s4, exec_lo
	v_add3_u32 v6, v6, v8, v7
	v_mul_u32_u24_e32 v7, 0x4e, v4
	v_lshlrev_b64 v[4:5], 4, v[5:6]
	v_sub_nc_u32_e32 v92, v0, v7
	v_lshlrev_b32_e32 v48, 4, v92
	v_add_co_u32 v0, s0, s8, v4
	v_add_co_ci_u32_e64 v4, s0, s9, v5, s0
	v_add_co_u32 v0, s0, v0, v1
	v_add_co_ci_u32_e64 v1, s0, v4, v2, s0
	v_add3_u32 v2, 0, v135, v48
	v_add_co_u32 v12, s0, v0, v48
	v_add_co_ci_u32_e64 v13, s0, 0, v1, s0
	s_clause 0x1
	global_load_dwordx4 v[4:7], v[12:13], off
	global_load_dwordx4 v[8:11], v[12:13], off offset:1248
	v_add_co_u32 v16, s0, 0x800, v12
	v_add_co_ci_u32_e64 v17, s0, 0, v13, s0
	v_add_co_u32 v20, s0, 0x1000, v12
	v_add_co_ci_u32_e64 v21, s0, 0, v13, s0
	;; [unrolled: 2-line block ×6, first 2 shown]
	s_clause 0x8
	global_load_dwordx4 v[12:15], v[16:17], off offset:448
	global_load_dwordx4 v[16:19], v[16:17], off offset:1696
	global_load_dwordx4 v[20:23], v[20:21], off offset:896
	global_load_dwordx4 v[24:27], v[28:29], off offset:96
	global_load_dwordx4 v[28:31], v[28:29], off offset:1344
	global_load_dwordx4 v[32:35], v[36:37], off offset:544
	global_load_dwordx4 v[36:39], v[36:37], off offset:1792
	global_load_dwordx4 v[40:43], v[40:41], off offset:992
	global_load_dwordx4 v[44:47], v[44:45], off offset:192
	s_waitcnt vmcnt(10)
	ds_write_b128 v2, v[4:7]
	s_waitcnt vmcnt(9)
	ds_write_b128 v2, v[8:11] offset:1248
	s_waitcnt vmcnt(8)
	ds_write_b128 v2, v[12:15] offset:2496
	;; [unrolled: 2-line block ×10, first 2 shown]
	v_cmpx_eq_u32_e32 0x4d, v92
	s_cbranch_execz .LBB0_13
; %bb.12:
	v_add_co_u32 v0, s0, 0x3000, v0
	v_add_co_ci_u32_e64 v1, s0, 0, v1, s0
	v_mov_b32_e32 v92, 0x4d
	global_load_dwordx4 v[4:7], v[0:1], off offset:1440
	s_waitcnt vmcnt(0)
	ds_write_b128 v2, v[4:7] offset:12496
.LBB0_13:
	s_or_b32 exec_lo, exec_lo, s4
.LBB0_14:
	s_or_b32 exec_lo, exec_lo, s1
	v_lshl_add_u32 v133, v3, 4, 0
	v_lshlrev_b32_e32 v10, 4, v92
	s_waitcnt lgkmcnt(0)
	s_barrier
	buffer_gl0_inv
	s_add_u32 s1, s12, 0x34d0
	v_add_nc_u32_e32 v136, v133, v10
	v_sub_nc_u32_e32 v11, v133, v10
	s_addc_u32 s4, s13, 0
	s_mov_b32 s5, exec_lo
	ds_read_b64 v[6:7], v136
	ds_read_b64 v[8:9], v11 offset:13728
                                        ; implicit-def: $vgpr4_vgpr5
	s_waitcnt lgkmcnt(0)
	v_add_f64 v[0:1], v[6:7], v[8:9]
	v_add_f64 v[2:3], v[6:7], -v[8:9]
	v_cmpx_ne_u32_e32 0, v92
	s_xor_b32 s5, exec_lo, s5
	s_cbranch_execz .LBB0_16
; %bb.15:
	v_mov_b32_e32 v93, 0
	v_add_f64 v[14:15], v[6:7], v[8:9]
	v_add_f64 v[16:17], v[6:7], -v[8:9]
	v_lshlrev_b64 v[0:1], 4, v[92:93]
	v_add_co_u32 v0, s0, s1, v0
	v_add_co_ci_u32_e64 v1, s0, s4, v1, s0
	global_load_dwordx4 v[2:5], v[0:1], off
	ds_read_b64 v[0:1], v11 offset:13736
	ds_read_b64 v[12:13], v136 offset:8
	s_waitcnt lgkmcnt(0)
	v_add_f64 v[6:7], v[0:1], v[12:13]
	v_add_f64 v[0:1], v[12:13], -v[0:1]
	s_waitcnt vmcnt(0)
	v_fma_f64 v[8:9], v[16:17], v[4:5], v[14:15]
	v_fma_f64 v[12:13], -v[16:17], v[4:5], v[14:15]
	v_fma_f64 v[14:15], v[6:7], v[4:5], -v[0:1]
	v_fma_f64 v[4:5], v[6:7], v[4:5], v[0:1]
	v_fma_f64 v[0:1], -v[6:7], v[2:3], v[8:9]
	v_fma_f64 v[6:7], v[6:7], v[2:3], v[12:13]
	v_fma_f64 v[8:9], v[16:17], v[2:3], v[14:15]
	;; [unrolled: 1-line block ×3, first 2 shown]
	v_mov_b32_e32 v4, v92
	v_mov_b32_e32 v5, v93
	ds_write_b128 v11, v[6:9] offset:13728
.LBB0_16:
	s_andn2_saveexec_b32 s0, s5
	s_cbranch_execz .LBB0_18
; %bb.17:
	ds_read_b128 v[4:7], v133 offset:6864
	s_waitcnt lgkmcnt(0)
	v_add_f64 v[12:13], v[4:5], v[4:5]
	v_mul_f64 v[14:15], v[6:7], -2.0
	v_mov_b32_e32 v4, 0
	v_mov_b32_e32 v5, 0
	ds_write_b128 v133, v[12:15] offset:6864
.LBB0_18:
	s_or_b32 exec_lo, exec_lo, s0
	v_lshlrev_b64 v[4:5], 4, v[4:5]
	v_add_co_u32 v4, s0, s1, v4
	v_add_co_ci_u32_e64 v5, s0, s4, v5, s0
	s_mov_b32 s1, exec_lo
	v_add_co_u32 v16, s0, 0x800, v4
	global_load_dwordx4 v[6:9], v[4:5], off offset:1248
	v_add_co_ci_u32_e64 v17, s0, 0, v5, s0
	v_add_co_u32 v24, s0, 0x1000, v4
	s_clause 0x1
	global_load_dwordx4 v[12:15], v[16:17], off offset:448
	global_load_dwordx4 v[16:19], v[16:17], off offset:1696
	v_add_co_ci_u32_e64 v25, s0, 0, v5, s0
	ds_write_b128 v136, v[0:3]
	ds_read_b128 v[0:3], v136 offset:1248
	ds_read_b128 v[20:23], v11 offset:12480
	global_load_dwordx4 v[24:27], v[24:25], off offset:896
	s_waitcnt lgkmcnt(0)
	v_add_f64 v[28:29], v[0:1], v[20:21]
	v_add_f64 v[30:31], v[22:23], v[2:3]
	v_add_f64 v[32:33], v[0:1], -v[20:21]
	v_add_f64 v[0:1], v[2:3], -v[22:23]
	s_waitcnt vmcnt(3)
	v_fma_f64 v[2:3], v[32:33], v[8:9], v[28:29]
	v_fma_f64 v[20:21], v[30:31], v[8:9], v[0:1]
	v_fma_f64 v[22:23], -v[32:33], v[8:9], v[28:29]
	v_fma_f64 v[8:9], v[30:31], v[8:9], -v[0:1]
	v_fma_f64 v[0:1], -v[30:31], v[6:7], v[2:3]
	v_fma_f64 v[2:3], v[32:33], v[6:7], v[20:21]
	v_fma_f64 v[20:21], v[30:31], v[6:7], v[22:23]
	v_fma_f64 v[22:23], v[32:33], v[6:7], v[8:9]
	ds_write_b128 v136, v[0:3] offset:1248
	ds_write_b128 v11, v[20:23] offset:12480
	ds_read_b128 v[0:3], v136 offset:2496
	ds_read_b128 v[6:9], v11 offset:11232
	s_waitcnt lgkmcnt(0)
	v_add_f64 v[20:21], v[0:1], v[6:7]
	v_add_f64 v[22:23], v[8:9], v[2:3]
	v_add_f64 v[28:29], v[0:1], -v[6:7]
	v_add_f64 v[0:1], v[2:3], -v[8:9]
	s_waitcnt vmcnt(2)
	v_fma_f64 v[2:3], v[28:29], v[14:15], v[20:21]
	v_fma_f64 v[6:7], v[22:23], v[14:15], v[0:1]
	v_fma_f64 v[8:9], -v[28:29], v[14:15], v[20:21]
	v_fma_f64 v[14:15], v[22:23], v[14:15], -v[0:1]
	v_fma_f64 v[0:1], -v[22:23], v[12:13], v[2:3]
	v_fma_f64 v[2:3], v[28:29], v[12:13], v[6:7]
	v_fma_f64 v[6:7], v[22:23], v[12:13], v[8:9]
	v_fma_f64 v[8:9], v[28:29], v[12:13], v[14:15]
	ds_write_b128 v136, v[0:3] offset:2496
	ds_write_b128 v11, v[6:9] offset:11232
	ds_read_b128 v[0:3], v136 offset:3744
	ds_read_b128 v[6:9], v11 offset:9984
	;; [unrolled: 18-line block ×3, first 2 shown]
	s_waitcnt lgkmcnt(0)
	v_add_f64 v[12:13], v[0:1], v[6:7]
	v_add_f64 v[14:15], v[8:9], v[2:3]
	v_add_f64 v[16:17], v[0:1], -v[6:7]
	v_add_f64 v[0:1], v[2:3], -v[8:9]
	s_waitcnt vmcnt(0)
	v_fma_f64 v[2:3], v[16:17], v[26:27], v[12:13]
	v_fma_f64 v[6:7], v[14:15], v[26:27], v[0:1]
	v_fma_f64 v[8:9], -v[16:17], v[26:27], v[12:13]
	v_fma_f64 v[12:13], v[14:15], v[26:27], -v[0:1]
	v_fma_f64 v[0:1], -v[14:15], v[24:25], v[2:3]
	v_fma_f64 v[2:3], v[16:17], v[24:25], v[6:7]
	v_fma_f64 v[6:7], v[14:15], v[24:25], v[8:9]
	;; [unrolled: 1-line block ×3, first 2 shown]
	ds_write_b128 v136, v[0:3] offset:4992
	ds_write_b128 v11, v[6:9] offset:8736
	v_cmpx_gt_u32_e32 39, v92
	s_cbranch_execz .LBB0_20
; %bb.19:
	v_add_co_u32 v0, s0, 0x1800, v4
	v_add_co_ci_u32_e64 v1, s0, 0, v5, s0
	global_load_dwordx4 v[0:3], v[0:1], off offset:96
	ds_read_b128 v[4:7], v136 offset:6240
	ds_read_b128 v[12:15], v11 offset:7488
	s_waitcnt lgkmcnt(0)
	v_add_f64 v[8:9], v[4:5], v[12:13]
	v_add_f64 v[16:17], v[14:15], v[6:7]
	v_add_f64 v[12:13], v[4:5], -v[12:13]
	v_add_f64 v[4:5], v[6:7], -v[14:15]
	s_waitcnt vmcnt(0)
	v_fma_f64 v[6:7], v[12:13], v[2:3], v[8:9]
	v_fma_f64 v[14:15], v[16:17], v[2:3], v[4:5]
	v_fma_f64 v[8:9], -v[12:13], v[2:3], v[8:9]
	v_fma_f64 v[18:19], v[16:17], v[2:3], -v[4:5]
	v_fma_f64 v[2:3], -v[16:17], v[0:1], v[6:7]
	v_fma_f64 v[4:5], v[12:13], v[0:1], v[14:15]
	v_fma_f64 v[6:7], v[16:17], v[0:1], v[8:9]
	;; [unrolled: 1-line block ×3, first 2 shown]
	ds_write_b128 v136, v[2:5] offset:6240
	ds_write_b128 v11, v[6:9] offset:7488
.LBB0_20:
	s_or_b32 exec_lo, exec_lo, s1
	v_add3_u32 v134, 0, v10, v135
	s_waitcnt lgkmcnt(0)
	s_barrier
	buffer_gl0_inv
	s_barrier
	buffer_gl0_inv
	ds_read_b128 v[4:7], v134 offset:12672
	ds_read_b128 v[52:55], v134 offset:1056
	;; [unrolled: 1-line block ×3, first 2 shown]
	ds_read_b128 v[12:15], v136
	ds_read_b128 v[48:51], v134 offset:2112
	s_mov_b32 s4, 0x42a4c3d2
	s_mov_b32 s5, 0xbfea55e2
	ds_read_b128 v[32:35], v134 offset:3168
	ds_read_b128 v[16:19], v134 offset:10560
	s_mov_b32 s6, 0x1ea71119
	s_mov_b32 s14, 0x2ef20147
	s_mov_b32 s7, 0x3fe22d96
	s_mov_b32 s15, 0xbfedeba7
	ds_read_b128 v[20:23], v134 offset:9504
	ds_read_b128 v[36:39], v134 offset:4224
	s_mov_b32 s18, 0xb2365da1
	s_mov_b32 s8, 0x4bc48dbf
	s_mov_b32 s19, 0xbfd6b1d8
	s_mov_b32 s9, 0xbfcea1e5
	ds_read_b128 v[28:31], v134 offset:5280
	ds_read_b128 v[24:27], v134 offset:8448
	s_mov_b32 s16, 0x93053d00
	s_mov_b32 s20, 0x24c2f84
	s_waitcnt lgkmcnt(9)
	v_add_f64 v[68:69], v[54:55], -v[6:7]
	v_add_f64 v[58:59], v[52:53], -v[4:5]
	v_add_f64 v[78:79], v[52:53], v[4:5]
	s_waitcnt lgkmcnt(6)
	v_add_f64 v[64:65], v[50:51], -v[10:11]
	v_add_f64 v[119:120], v[54:55], v[6:7]
	v_add_f64 v[56:57], v[48:49], -v[8:9]
	v_add_f64 v[62:63], v[48:49], v[8:9]
	v_add_f64 v[105:106], v[50:51], v[10:11]
	s_waitcnt lgkmcnt(4)
	v_add_f64 v[70:71], v[34:35], -v[18:19]
	v_add_f64 v[60:61], v[32:33], -v[16:17]
	v_add_f64 v[74:75], v[32:33], v[16:17]
	v_add_f64 v[117:118], v[34:35], v[18:19]
	s_waitcnt lgkmcnt(2)
	v_add_f64 v[86:87], v[38:39], -v[22:23]
	v_add_f64 v[66:67], v[36:37], -v[20:21]
	s_mov_b32 s17, 0xbfef11f4
	s_mov_b32 s21, 0x3fe5384d
	v_add_f64 v[95:96], v[36:37], v[20:21]
	v_add_f64 v[127:128], v[38:39], v[22:23]
	s_waitcnt lgkmcnt(0)
	v_add_f64 v[109:110], v[30:31], -v[26:27]
	v_add_f64 v[72:73], v[28:29], -v[24:25]
	ds_read_b128 v[44:47], v134 offset:6336
	ds_read_b128 v[40:43], v134 offset:7392
	s_mov_b32 s22, 0xd0032e0c
	v_mul_f64 v[93:94], v[68:69], s[4:5]
	v_mul_f64 v[99:100], v[58:59], s[4:5]
	s_mov_b32 s24, 0x66966769
	v_mul_f64 v[80:81], v[64:65], s[14:15]
	s_mov_b32 s23, 0xbfe7f3cc
	;; [unrolled: 2-line block ×3, first 2 shown]
	v_add_f64 v[123:124], v[30:31], v[26:27]
	v_mul_f64 v[103:104], v[70:71], s[8:9]
	v_mul_f64 v[113:114], v[60:61], s[8:9]
	s_mov_b32 s28, 0xebaa3ed8
	s_mov_b32 s30, 0x4267c47c
	v_mul_f64 v[115:116], v[86:87], s[20:21]
	v_mul_f64 v[129:130], v[66:67], s[20:21]
	s_mov_b32 s29, 0x3fbedb7d
	s_mov_b32 s31, 0x3fddbe06
	;; [unrolled: 1-line block ×4, first 2 shown]
	s_waitcnt lgkmcnt(0)
	v_add_f64 v[101:102], v[46:47], -v[42:43]
	v_mul_f64 v[121:122], v[109:110], s[24:25]
	v_mul_f64 v[131:132], v[72:73], s[24:25]
	v_add_f64 v[125:126], v[46:47], v[42:43]
	v_fma_f64 v[0:1], v[78:79], s[6:7], v[93:94]
	v_fma_f64 v[2:3], v[119:120], s[6:7], -v[99:100]
	s_mov_b32 s33, exec_lo
	v_fma_f64 v[76:77], v[62:63], s[18:19], v[80:81]
	v_fma_f64 v[82:83], v[105:106], s[18:19], -v[97:98]
	s_barrier
	buffer_gl0_inv
	v_fma_f64 v[84:85], v[74:75], s[16:17], v[103:104]
	v_fma_f64 v[107:108], v[117:118], s[16:17], -v[113:114]
	v_fma_f64 v[137:138], v[95:96], s[22:23], v[115:116]
	v_fma_f64 v[139:140], v[127:128], s[22:23], -v[129:130]
	v_fma_f64 v[143:144], v[123:124], s[28:29], -v[131:132]
	v_add_f64 v[0:1], v[12:13], v[0:1]
	v_add_f64 v[2:3], v[14:15], v[2:3]
	;; [unrolled: 1-line block ×5, first 2 shown]
	v_add_f64 v[76:77], v[44:45], -v[40:41]
	v_add_f64 v[0:1], v[84:85], v[0:1]
	v_add_f64 v[2:3], v[107:108], v[2:3]
	;; [unrolled: 1-line block ×3, first 2 shown]
	v_mul_f64 v[107:108], v[101:102], s[30:31]
	v_mul_f64 v[111:112], v[76:77], s[30:31]
	v_fma_f64 v[141:142], v[82:83], s[28:29], v[121:122]
	v_add_f64 v[0:1], v[137:138], v[0:1]
	v_add_f64 v[2:3], v[139:140], v[2:3]
	v_fma_f64 v[137:138], v[84:85], s[26:27], v[107:108]
	v_fma_f64 v[139:140], v[125:126], s[26:27], -v[111:112]
	v_add_f64 v[0:1], v[141:142], v[0:1]
	v_add_f64 v[2:3], v[143:144], v[2:3]
	;; [unrolled: 1-line block ×4, first 2 shown]
	v_cmpx_gt_u32_e32 0x42, v92
	s_cbranch_execz .LBB0_22
; %bb.21:
	v_add_f64 v[54:55], v[14:15], v[54:55]
	v_add_f64 v[52:53], v[12:13], v[52:53]
	v_mul_f64 v[137:138], v[119:120], s[16:17]
	v_mul_f64 v[139:140], v[68:69], s[8:9]
	s_mov_b32 s1, 0x3fcea1e5
	s_mov_b32 s0, s8
	v_mul_f64 v[141:142], v[105:106], s[26:27]
	v_mul_f64 v[143:144], v[64:65], s[30:31]
	s_mov_b32 s39, 0xbfddbe06
	s_mov_b32 s35, 0xbfe5384d
	;; [unrolled: 1-line block ×4, first 2 shown]
	v_mul_f64 v[145:146], v[117:118], s[22:23]
	v_mul_f64 v[155:156], v[105:106], s[28:29]
	;; [unrolled: 1-line block ×6, first 2 shown]
	s_mov_b32 s37, 0x3fea55e2
	s_mov_b32 s36, s4
	s_mov_b32 s41, 0x3fedeba7
	s_mov_b32 s40, s14
	v_add_f64 v[50:51], v[54:55], v[50:51]
	v_add_f64 v[48:49], v[52:53], v[48:49]
	v_mul_f64 v[54:55], v[119:120], s[22:23]
	v_fma_f64 v[183:184], v[58:59], s[0:1], v[137:138]
	v_fma_f64 v[185:186], v[78:79], s[16:17], v[139:140]
	;; [unrolled: 1-line block ×5, first 2 shown]
	v_fma_f64 v[139:140], v[78:79], s[16:17], -v[139:140]
	s_mov_b32 s43, 0xbfefc445
	s_mov_b32 s42, s24
	v_mul_f64 v[147:148], v[127:128], s[6:7]
	v_mul_f64 v[159:160], v[105:106], s[22:23]
	;; [unrolled: 1-line block ×6, first 2 shown]
	v_fma_f64 v[209:210], v[60:61], s[20:21], v[145:146]
	v_fma_f64 v[141:142], v[56:57], s[30:31], v[141:142]
	v_fma_f64 v[143:144], v[62:63], s[26:27], -v[143:144]
	v_fma_f64 v[219:220], v[56:57], s[42:43], v[155:156]
	v_fma_f64 v[221:222], v[58:59], s[40:41], v[157:158]
	v_add_f64 v[34:35], v[50:51], v[34:35]
	v_add_f64 v[32:33], v[48:49], v[32:33]
	v_fma_f64 v[217:218], v[58:59], s[20:21], v[54:55]
	v_add_f64 v[183:184], v[14:15], v[183:184]
	v_add_f64 v[185:186], v[12:13], v[185:186]
	v_fma_f64 v[54:55], v[58:59], s[34:35], v[54:55]
	v_fma_f64 v[155:156], v[56:57], s[24:25], v[155:156]
	v_fma_f64 v[225:226], v[78:79], s[18:19], v[161:162]
	v_fma_f64 v[157:158], v[58:59], s[14:15], v[157:158]
	v_fma_f64 v[229:230], v[74:75], s[22:23], v[191:192]
	v_fma_f64 v[231:232], v[78:79], s[22:23], v[195:196]
	v_fma_f64 v[195:196], v[78:79], s[22:23], -v[195:196]
	v_add_f64 v[137:138], v[14:15], v[137:138]
	v_add_f64 v[139:140], v[12:13], v[139:140]
	v_mul_f64 v[149:150], v[123:124], s[18:19]
	v_mul_f64 v[151:152], v[109:110], s[14:15]
	;; [unrolled: 1-line block ×6, first 2 shown]
	v_fma_f64 v[211:212], v[66:67], s[4:5], v[147:148]
	v_fma_f64 v[223:224], v[56:57], s[34:35], v[159:160]
	v_add_f64 v[34:35], v[34:35], v[38:39]
	v_add_f64 v[32:33], v[32:33], v[36:37]
	v_fma_f64 v[227:228], v[62:63], s[22:23], v[163:164]
	v_add_f64 v[183:184], v[205:206], v[183:184]
	v_add_f64 v[185:186], v[207:208], v[185:186]
	;; [unrolled: 1-line block ×3, first 2 shown]
	v_fma_f64 v[145:146], v[60:61], s[34:35], v[145:146]
	v_fma_f64 v[205:206], v[60:61], s[36:37], v[167:168]
	;; [unrolled: 1-line block ×4, first 2 shown]
	v_add_f64 v[157:158], v[14:15], v[157:158]
	v_add_f64 v[195:196], v[12:13], v[195:196]
	;; [unrolled: 1-line block ×4, first 2 shown]
	v_mul_f64 v[153:154], v[125:126], s[28:29]
	v_mul_f64 v[52:53], v[101:102], s[24:25]
	;; [unrolled: 1-line block ×8, first 2 shown]
	v_add_f64 v[30:31], v[34:35], v[30:31]
	v_add_f64 v[28:29], v[32:33], v[28:29]
	v_fma_f64 v[34:35], v[78:79], s[18:19], -v[161:162]
	v_add_f64 v[161:162], v[14:15], v[217:218]
	v_fma_f64 v[32:33], v[56:57], s[20:21], v[159:160]
	v_fma_f64 v[159:160], v[62:63], s[22:23], -v[163:164]
	v_fma_f64 v[163:164], v[62:63], s[28:29], v[165:166]
	v_fma_f64 v[165:166], v[62:63], s[28:29], -v[165:166]
	v_add_f64 v[217:218], v[14:15], v[221:222]
	v_add_f64 v[221:222], v[12:13], v[225:226]
	;; [unrolled: 1-line block ×6, first 2 shown]
	v_fma_f64 v[213:214], v[72:73], s[40:41], v[149:150]
	v_fma_f64 v[215:216], v[82:83], s[18:19], v[151:152]
	v_fma_f64 v[143:144], v[74:75], s[26:27], v[171:172]
	v_fma_f64 v[185:186], v[74:75], s[6:7], v[173:174]
	v_fma_f64 v[173:174], v[74:75], s[6:7], -v[173:174]
	v_fma_f64 v[147:148], v[66:67], s[36:37], v[147:148]
	v_add_f64 v[137:138], v[145:146], v[137:138]
	v_mul_f64 v[181:182], v[109:110], s[30:31]
	v_add_f64 v[30:31], v[30:31], v[46:47]
	v_add_f64 v[28:29], v[28:29], v[44:45]
	v_fma_f64 v[46:47], v[74:75], s[22:23], -v[191:192]
	v_add_f64 v[161:162], v[219:220], v[161:162]
	v_fma_f64 v[44:45], v[60:61], s[38:39], v[169:170]
	v_fma_f64 v[169:170], v[60:61], s[30:31], v[169:170]
	;; [unrolled: 1-line block ×4, first 2 shown]
	v_add_f64 v[155:156], v[223:224], v[217:218]
	v_add_f64 v[209:210], v[227:228], v[221:222]
	;; [unrolled: 1-line block ×9, first 2 shown]
	v_mul_f64 v[48:49], v[123:124], s[16:17]
	v_mul_f64 v[187:188], v[105:106], s[16:17]
	;; [unrolled: 1-line block ×4, first 2 shown]
	v_fma_f64 v[36:37], v[76:77], s[42:43], v[153:154]
	v_add_f64 v[30:31], v[30:31], v[42:43]
	v_add_f64 v[28:29], v[28:29], v[40:41]
	v_fma_f64 v[42:43], v[95:96], s[6:7], -v[193:194]
	v_add_f64 v[46:47], v[46:47], v[139:140]
	v_add_f64 v[161:162], v[205:206], v[161:162]
	v_fma_f64 v[38:39], v[84:85], s[28:29], v[52:53]
	v_fma_f64 v[40:41], v[66:67], s[24:25], v[177:178]
	;; [unrolled: 1-line block ×7, first 2 shown]
	v_fma_f64 v[193:194], v[95:96], s[16:17], -v[199:200]
	v_add_f64 v[44:45], v[44:45], v[155:156]
	v_add_f64 v[143:144], v[143:144], v[209:210]
	;; [unrolled: 1-line block ×8, first 2 shown]
	v_fma_f64 v[147:148], v[82:83], s[18:19], -v[151:152]
	v_fma_f64 v[151:152], v[72:73], s[38:39], v[179:180]
	v_add_f64 v[28:29], v[28:29], v[24:25]
	v_fma_f64 v[163:164], v[74:75], s[26:27], -v[171:172]
	v_add_f64 v[42:43], v[42:43], v[46:47]
	v_fma_f64 v[46:47], v[72:73], s[30:31], v[179:180]
	v_add_f64 v[161:162], v[191:192], v[161:162]
	v_fma_f64 v[50:51], v[58:59], s[24:25], v[50:51]
	;; [unrolled: 2-line block ×3, first 2 shown]
	v_add_f64 v[54:55], v[175:176], v[54:55]
	v_add_f64 v[30:31], v[30:31], v[26:27]
	v_fma_f64 v[159:160], v[56:57], s[8:9], v[187:188]
	v_add_f64 v[165:166], v[14:15], v[165:166]
	v_add_f64 v[40:41], v[40:41], v[44:45]
	;; [unrolled: 1-line block ×9, first 2 shown]
	v_fma_f64 v[38:39], v[82:83], s[26:27], v[181:182]
	v_fma_f64 v[145:146], v[95:96], s[28:29], -v[197:198]
	v_add_f64 v[20:21], v[28:29], v[20:21]
	v_mul_f64 v[28:29], v[117:118], s[18:19]
	v_add_f64 v[36:37], v[147:148], v[42:43]
	v_fma_f64 v[147:148], v[72:73], s[8:9], v[48:49]
	v_add_f64 v[42:43], v[151:152], v[161:162]
	v_fma_f64 v[149:150], v[82:83], s[16:17], v[201:202]
	v_add_f64 v[34:35], v[163:164], v[34:35]
	v_mul_f64 v[151:152], v[119:120], s[6:7]
	v_mul_f64 v[155:156], v[78:79], s[6:7]
	;; [unrolled: 1-line block ×3, first 2 shown]
	v_add_f64 v[46:47], v[46:47], v[54:55]
	v_mul_f64 v[54:55], v[68:69], s[38:39]
	v_fma_f64 v[48:49], v[72:73], s[0:1], v[48:49]
	v_add_f64 v[50:51], v[14:15], v[50:51]
	v_add_f64 v[68:69], v[12:13], v[167:168]
	v_fma_f64 v[157:158], v[56:57], s[0:1], v[187:188]
	v_fma_f64 v[161:162], v[62:63], s[16:17], v[189:190]
	v_mul_f64 v[163:164], v[70:71], s[40:41]
	v_add_f64 v[22:23], v[30:31], v[22:23]
	v_fma_f64 v[30:31], v[78:79], s[28:29], -v[203:204]
	v_fma_f64 v[141:142], v[82:83], s[26:27], -v[181:182]
	v_add_f64 v[159:160], v[159:160], v[165:166]
	v_add_f64 v[38:39], v[38:39], v[139:140]
	v_fma_f64 v[165:166], v[60:61], s[40:41], v[28:29]
	v_mul_f64 v[139:140], v[127:128], s[26:27]
	v_add_f64 v[40:41], v[147:148], v[40:41]
	v_mul_f64 v[147:148], v[105:106], s[18:19]
	v_add_f64 v[44:45], v[149:150], v[44:45]
	v_add_f64 v[34:35], v[145:146], v[34:35]
	;; [unrolled: 1-line block ×3, first 2 shown]
	v_add_f64 v[93:94], v[155:156], -v[93:94]
	v_fma_f64 v[145:146], v[58:59], s[30:31], v[119:120]
	v_fma_f64 v[28:29], v[60:61], s[14:15], v[28:29]
	;; [unrolled: 1-line block ×3, first 2 shown]
	v_add_f64 v[32:33], v[48:49], v[32:33]
	v_fma_f64 v[48:49], v[58:59], s[38:39], v[119:120]
	v_fma_f64 v[54:55], v[78:79], s[26:27], -v[54:55]
	v_add_f64 v[50:51], v[157:158], v[50:51]
	v_add_f64 v[58:59], v[161:162], v[68:69]
	v_fma_f64 v[68:69], v[74:75], s[18:19], v[163:164]
	v_mul_f64 v[119:120], v[62:63], s[18:19]
	v_mul_f64 v[105:106], v[105:106], s[6:7]
	v_mul_f64 v[64:65], v[64:65], s[4:5]
	v_add_f64 v[30:31], v[12:13], v[30:31]
	v_add_f64 v[141:142], v[141:142], v[143:144]
	v_fma_f64 v[143:144], v[82:83], s[16:17], -v[201:202]
	v_add_f64 v[78:79], v[165:166], v[159:160]
	v_fma_f64 v[151:152], v[66:67], s[30:31], v[139:140]
	v_mul_f64 v[157:158], v[117:118], s[16:17]
	v_add_f64 v[97:98], v[97:98], v[147:148]
	v_add_f64 v[18:19], v[22:23], v[18:19]
	;; [unrolled: 1-line block ×5, first 2 shown]
	v_mul_f64 v[22:23], v[74:75], s[16:17]
	v_add_f64 v[147:148], v[12:13], v[149:150]
	v_add_f64 v[16:17], v[20:21], v[16:17]
	;; [unrolled: 1-line block ×5, first 2 shown]
	v_mul_f64 v[50:51], v[117:118], s[28:29]
	v_add_f64 v[28:29], v[68:69], v[58:59]
	v_add_f64 v[48:49], v[119:120], -v[80:81]
	v_fma_f64 v[54:55], v[56:57], s[4:5], v[105:106]
	v_fma_f64 v[68:69], v[62:63], s[6:7], -v[64:65]
	v_mul_f64 v[70:71], v[70:71], s[42:43]
	v_fma_f64 v[167:168], v[62:63], s[16:17], -v[189:190]
	v_fma_f64 v[56:57], v[56:57], s[36:37], v[105:106]
	v_fma_f64 v[62:63], v[62:63], s[6:7], v[64:65]
	v_add_f64 v[143:144], v[143:144], v[34:35]
	v_mul_f64 v[34:35], v[123:124], s[28:29]
	v_mul_f64 v[149:150], v[127:128], s[22:23]
	v_add_f64 v[58:59], v[151:152], v[78:79]
	v_add_f64 v[78:79], v[113:114], v[157:158]
	;; [unrolled: 1-line block ×3, first 2 shown]
	v_mul_f64 v[80:81], v[95:96], s[22:23]
	v_add_f64 v[22:23], v[22:23], -v[103:104]
	v_fma_f64 v[155:156], v[74:75], s[18:19], -v[163:164]
	v_mul_f64 v[105:106], v[82:83], s[28:29]
	v_fma_f64 v[139:140], v[66:67], s[38:39], v[139:140]
	v_mul_f64 v[103:104], v[125:126], s[26:27]
	v_mul_f64 v[99:100], v[125:126], s[18:19]
	;; [unrolled: 1-line block ×4, first 2 shown]
	v_add_f64 v[48:49], v[48:49], v[93:94]
	v_fma_f64 v[93:94], v[60:61], s[42:43], v[50:51]
	v_add_f64 v[14:15], v[54:55], v[14:15]
	v_mul_f64 v[54:55], v[127:128], s[18:19]
	v_mul_f64 v[127:128], v[86:87], s[14:15]
	v_add_f64 v[12:13], v[68:69], v[12:13]
	v_fma_f64 v[68:69], v[74:75], s[28:29], -v[70:71]
	v_add_f64 v[30:31], v[167:168], v[30:31]
	v_mul_f64 v[86:87], v[86:87], s[30:31]
	v_fma_f64 v[50:51], v[60:61], s[24:25], v[50:51]
	v_add_f64 v[56:57], v[56:57], v[145:146]
	v_fma_f64 v[70:71], v[74:75], s[28:29], v[70:71]
	v_add_f64 v[62:63], v[62:63], v[147:148]
	v_add_f64 v[34:35], v[131:132], v[34:35]
	;; [unrolled: 1-line block ×4, first 2 shown]
	v_mul_f64 v[131:132], v[123:124], s[6:7]
	v_mul_f64 v[123:124], v[123:124], s[22:23]
	v_add_f64 v[80:81], v[80:81], -v[115:116]
	v_mul_f64 v[115:116], v[109:110], s[4:5]
	v_mul_f64 v[60:61], v[125:126], s[6:7]
	v_add_f64 v[105:106], v[105:106], -v[121:122]
	v_add_f64 v[22:23], v[22:23], v[48:49]
	v_mul_f64 v[121:122], v[125:126], s[16:17]
	v_add_f64 v[14:15], v[93:94], v[14:15]
	v_fma_f64 v[93:94], v[66:67], s[14:15], v[54:55]
	v_fma_f64 v[48:49], v[95:96], s[18:19], -v[127:128]
	v_fma_f64 v[54:55], v[66:67], s[40:41], v[54:55]
	v_add_f64 v[12:13], v[68:69], v[12:13]
	v_mul_f64 v[68:69], v[109:110], s[34:35]
	v_add_f64 v[30:31], v[155:156], v[30:31]
	v_fma_f64 v[109:110], v[95:96], s[26:27], -v[86:87]
	v_fma_f64 v[86:87], v[95:96], s[26:27], v[86:87]
	v_add_f64 v[50:51], v[50:51], v[56:57]
	v_fma_f64 v[95:96], v[95:96], s[18:19], v[127:128]
	v_add_f64 v[62:63], v[70:71], v[62:63]
	v_mul_f64 v[127:128], v[125:126], s[22:23]
	v_add_f64 v[78:79], v[113:114], v[78:79]
	v_mul_f64 v[129:130], v[101:102], s[36:37]
	v_fma_f64 v[125:126], v[72:73], s[34:35], v[123:124]
	v_fma_f64 v[70:71], v[72:73], s[4:5], v[131:132]
	v_mul_f64 v[113:114], v[101:102], s[34:35]
	v_add_f64 v[20:21], v[139:140], v[20:21]
	v_add_f64 v[16:17], v[16:17], v[8:9]
	;; [unrolled: 1-line block ×3, first 2 shown]
	v_fma_f64 v[80:81], v[72:73], s[36:37], v[131:132]
	v_fma_f64 v[72:73], v[72:73], s[20:21], v[123:124]
	v_add_f64 v[14:15], v[93:94], v[14:15]
	v_mul_f64 v[93:94], v[101:102], s[8:9]
	v_fma_f64 v[101:102], v[82:83], s[6:7], -v[115:116]
	v_add_f64 v[12:13], v[48:49], v[12:13]
	v_fma_f64 v[48:49], v[82:83], s[22:23], -v[68:69]
	v_fma_f64 v[52:53], v[84:85], s[28:29], -v[52:53]
	v_add_f64 v[30:31], v[109:110], v[30:31]
	v_fma_f64 v[109:110], v[82:83], s[6:7], v[115:116]
	v_add_f64 v[28:29], v[86:87], v[28:29]
	v_add_f64 v[50:51], v[54:55], v[50:51]
	v_fma_f64 v[54:55], v[82:83], s[22:23], v[68:69]
	v_add_f64 v[62:63], v[95:96], v[62:63]
	v_add_f64 v[82:83], v[111:112], v[103:104]
	;; [unrolled: 1-line block ×3, first 2 shown]
	v_fma_f64 v[74:75], v[84:85], s[18:19], v[117:118]
	v_add_f64 v[34:35], v[34:35], v[78:79]
	v_fma_f64 v[78:79], v[76:77], s[8:9], v[121:122]
	v_fma_f64 v[66:67], v[76:77], s[4:5], v[60:61]
	v_fma_f64 v[60:61], v[76:77], s[36:37], v[60:61]
	v_add_f64 v[64:65], v[64:65], -v[107:108]
	v_add_f64 v[105:106], v[105:106], v[22:23]
	v_fma_f64 v[68:69], v[76:77], s[34:35], v[127:128]
	v_add_f64 v[86:87], v[125:126], v[14:15]
	v_fma_f64 v[95:96], v[84:85], s[16:17], -v[93:94]
	v_add_f64 v[58:59], v[70:71], v[58:59]
	v_fma_f64 v[70:71], v[84:85], s[22:23], -v[113:114]
	v_add_f64 v[48:49], v[48:49], v[12:13]
	v_fma_f64 v[56:57], v[84:85], s[6:7], v[129:130]
	v_add_f64 v[101:102], v[101:102], v[30:31]
	v_fma_f64 v[129:130], v[84:85], s[6:7], -v[129:130]
	v_fma_f64 v[97:98], v[76:77], s[40:41], v[99:100]
	v_fma_f64 v[99:100], v[76:77], s[14:15], v[99:100]
	v_fma_f64 v[117:118], v[84:85], s[18:19], -v[117:118]
	v_fma_f64 v[119:120], v[76:77], s[24:25], v[153:154]
	v_fma_f64 v[107:108], v[76:77], s[20:21], v[127:128]
	v_add_f64 v[80:81], v[80:81], v[20:21]
	v_fma_f64 v[111:112], v[84:85], s[22:23], v[113:114]
	v_add_f64 v[109:110], v[109:110], v[28:29]
	;; [unrolled: 2-line block ×4, first 2 shown]
	v_add_f64 v[6:7], v[103:104], v[6:7]
	v_add_f64 v[4:5], v[16:17], v[4:5]
	;; [unrolled: 1-line block ×22, first 2 shown]
	v_mul_u32_u24_e32 v52, 0xd0, v92
	v_add3_u32 v52, 0, v52, v135
	ds_write_b128 v52, v[4:7]
	ds_write_b128 v52, v[36:39] offset:16
	ds_write_b128 v52, v[32:35] offset:32
	;; [unrolled: 1-line block ×12, first 2 shown]
.LBB0_22:
	s_or_b32 exec_lo, exec_lo, s33
	v_and_b32_e32 v4, 0xff, v92
	v_mov_b32_e32 v5, 10
	s_waitcnt lgkmcnt(0)
	s_barrier
	buffer_gl0_inv
	v_mul_lo_u16 v4, 0x4f, v4
	s_mov_b32 s16, 0xf8bb580b
	s_mov_b32 s17, 0xbfe14ced
	;; [unrolled: 1-line block ×4, first 2 shown]
	v_lshrrev_b16 v102, 10, v4
	s_mov_b32 s20, 0x43842ef
	s_mov_b32 s21, 0xbfefac9e
	;; [unrolled: 1-line block ×4, first 2 shown]
	v_mul_lo_u16 v4, v102, 13
	s_mov_b32 s24, 0xfd768dbf
	s_mov_b32 s25, 0xbfd207e7
	v_and_b32_e32 v249, 0xffff, v102
	s_mov_b32 s0, 0x8764f0ba
	v_sub_nc_u16 v101, v92, v4
	s_mov_b32 s1, 0x3feaeb8c
	s_mov_b32 s4, 0xd9c712b6
	;; [unrolled: 1-line block ×4, first 2 shown]
	v_mul_u32_u24_sdwa v4, v101, v5 dst_sel:DWORD dst_unused:UNUSED_PAD src0_sel:BYTE_0 src1_sel:DWORD
	s_mov_b32 s7, 0xbfc2375f
	s_mov_b32 s8, 0x7f775887
	s_mov_b32 s27, 0x3fd207e7
	s_mov_b32 s29, 0x3fefac9e
	v_lshlrev_b32_e32 v4, 4, v4
	s_mov_b32 s31, 0x3fe14ced
	s_mov_b32 s26, s24
	;; [unrolled: 1-line block ×4, first 2 shown]
	s_clause 0x9
	global_load_dwordx4 v[8:11], v4, s[12:13]
	global_load_dwordx4 v[40:43], v4, s[12:13] offset:144
	global_load_dwordx4 v[36:39], v4, s[12:13] offset:16
	;; [unrolled: 1-line block ×9, first 2 shown]
	ds_read_b128 v[4:7], v136
	ds_read_b128 v[76:79], v134 offset:1248
	ds_read_b128 v[72:75], v134 offset:2496
	;; [unrolled: 1-line block ×10, first 2 shown]
	s_mov_b32 s9, 0xbfe4f49e
	s_mov_b32 s14, 0x9bcd5057
	;; [unrolled: 1-line block ×3, first 2 shown]
	v_mov_b32_e32 v132, 4
	s_waitcnt vmcnt(0) lgkmcnt(0)
	s_barrier
	buffer_gl0_inv
	v_mul_f64 v[93:94], v[78:79], v[10:11]
	v_mul_f64 v[10:11], v[76:77], v[10:11]
	;; [unrolled: 1-line block ×20, first 2 shown]
	v_fma_f64 v[76:77], v[76:77], v[8:9], -v[93:94]
	v_fma_f64 v[8:9], v[78:79], v[8:9], v[10:11]
	v_fma_f64 v[78:79], v[86:87], v[40:41], v[99:100]
	v_fma_f64 v[84:85], v[84:85], v[40:41], -v[97:98]
	v_fma_f64 v[10:11], v[72:73], v[36:37], -v[42:43]
	v_fma_f64 v[36:37], v[74:75], v[36:37], v[38:39]
	v_fma_f64 v[38:39], v[82:83], v[44:45], v[95:96]
	v_fma_f64 v[40:41], v[80:81], v[44:45], -v[46:47]
	v_fma_f64 v[42:43], v[64:65], v[32:33], -v[103:104]
	v_fma_f64 v[32:33], v[66:67], v[32:33], v[34:35]
	v_fma_f64 v[34:35], v[68:69], v[24:25], -v[105:106]
	v_fma_f64 v[24:25], v[70:71], v[24:25], v[26:27]
	;; [unrolled: 2-line block ×3, first 2 shown]
	v_fma_f64 v[18:19], v[62:63], v[28:29], v[109:110]
	v_fma_f64 v[28:29], v[60:61], v[28:29], -v[30:31]
	v_fma_f64 v[30:31], v[48:49], v[20:21], -v[111:112]
	v_fma_f64 v[20:21], v[50:51], v[20:21], v[22:23]
	v_fma_f64 v[22:23], v[54:55], v[12:13], v[113:114]
	v_fma_f64 v[12:13], v[52:53], v[12:13], -v[14:15]
	v_add_f64 v[14:15], v[4:5], v[76:77]
	v_add_f64 v[44:45], v[6:7], v[8:9]
	v_add_f64 v[46:47], v[8:9], -v[78:79]
	v_add_f64 v[48:49], v[76:77], -v[84:85]
	v_add_f64 v[54:55], v[76:77], v[84:85]
	v_add_f64 v[8:9], v[8:9], v[78:79]
	v_add_f64 v[50:51], v[36:37], -v[38:39]
	v_add_f64 v[52:53], v[10:11], -v[40:41]
	;; [unrolled: 4-line block ×5, first 2 shown]
	v_add_f64 v[80:81], v[30:31], v[12:13]
	v_add_f64 v[86:87], v[20:21], v[22:23]
	;; [unrolled: 1-line block ×4, first 2 shown]
	v_mul_f64 v[36:37], v[46:47], s[16:17]
	v_mul_f64 v[44:45], v[48:49], s[16:17]
	v_mul_f64 v[93:94], v[46:47], s[18:19]
	v_mul_f64 v[95:96], v[48:49], s[18:19]
	v_mul_f64 v[97:98], v[46:47], s[20:21]
	v_mul_f64 v[99:100], v[48:49], s[20:21]
	v_mul_f64 v[102:103], v[46:47], s[22:23]
	v_mul_f64 v[104:105], v[48:49], s[22:23]
	v_mul_f64 v[46:47], v[46:47], s[24:25]
	v_mul_f64 v[48:49], v[48:49], s[24:25]
	v_mul_f64 v[106:107], v[50:51], s[18:19]
	v_mul_f64 v[108:109], v[52:53], s[18:19]
	s_mov_b32 s19, 0x3fed1bb4
	v_mul_f64 v[110:111], v[50:51], s[22:23]
	v_mul_f64 v[112:113], v[52:53], s[22:23]
	;; [unrolled: 1-line block ×7, first 2 shown]
	v_add_f64 v[10:11], v[10:11], v[42:43]
	v_add_f64 v[14:15], v[14:15], v[32:33]
	v_fma_f64 v[32:33], v[54:55], s[0:1], -v[36:37]
	v_fma_f64 v[42:43], v[8:9], s[0:1], v[44:45]
	v_fma_f64 v[36:37], v[54:55], s[0:1], v[36:37]
	v_fma_f64 v[44:45], v[8:9], s[0:1], -v[44:45]
	v_fma_f64 v[175:176], v[54:55], s[4:5], -v[93:94]
	v_fma_f64 v[177:178], v[8:9], s[4:5], v[95:96]
	v_mul_f64 v[52:53], v[52:53], s[30:31]
	v_mul_f64 v[122:123], v[66:67], s[20:21]
	;; [unrolled: 1-line block ×14, first 2 shown]
	v_add_f64 v[10:11], v[10:11], v[26:27]
	v_add_f64 v[14:15], v[14:15], v[16:17]
	v_mul_f64 v[153:154], v[72:73], s[28:29]
	v_mul_f64 v[155:156], v[72:73], s[16:17]
	;; [unrolled: 1-line block ×17, first 2 shown]
	v_fma_f64 v[93:94], v[54:55], s[4:5], v[93:94]
	v_fma_f64 v[179:180], v[54:55], s[6:7], -v[97:98]
	v_fma_f64 v[181:182], v[8:9], s[6:7], v[99:100]
	v_fma_f64 v[183:184], v[54:55], s[8:9], -v[102:103]
	v_fma_f64 v[185:186], v[8:9], s[8:9], v[104:105]
	v_fma_f64 v[97:98], v[54:55], s[6:7], v[97:98]
	;; [unrolled: 1-line block ×3, first 2 shown]
	v_fma_f64 v[187:188], v[54:55], s[14:15], -v[46:47]
	v_fma_f64 v[189:190], v[8:9], s[14:15], v[48:49]
	v_fma_f64 v[95:96], v[8:9], s[4:5], -v[95:96]
	v_fma_f64 v[99:100], v[8:9], s[6:7], -v[99:100]
	;; [unrolled: 1-line block ×3, first 2 shown]
	v_fma_f64 v[46:47], v[54:55], s[14:15], v[46:47]
	v_fma_f64 v[8:9], v[8:9], s[14:15], -v[48:49]
	v_add_f64 v[10:11], v[10:11], v[30:31]
	v_add_f64 v[14:15], v[14:15], v[20:21]
	v_fma_f64 v[48:49], v[56:57], s[4:5], -v[106:107]
	v_fma_f64 v[54:55], v[58:59], s[4:5], v[108:109]
	v_add_f64 v[20:21], v[4:5], v[32:33]
	v_add_f64 v[30:31], v[6:7], v[42:43]
	v_fma_f64 v[106:107], v[56:57], s[4:5], v[106:107]
	v_fma_f64 v[108:109], v[58:59], s[4:5], -v[108:109]
	v_fma_f64 v[191:192], v[56:57], s[8:9], -v[110:111]
	v_fma_f64 v[193:194], v[58:59], s[8:9], v[112:113]
	v_add_f64 v[32:33], v[4:5], v[36:37]
	v_add_f64 v[36:37], v[6:7], v[44:45]
	;; [unrolled: 1-line block ×4, first 2 shown]
	v_fma_f64 v[110:111], v[56:57], s[8:9], v[110:111]
	v_fma_f64 v[112:113], v[58:59], s[8:9], -v[112:113]
	v_fma_f64 v[195:196], v[56:57], s[14:15], -v[114:115]
	v_fma_f64 v[197:198], v[58:59], s[14:15], v[116:117]
	v_fma_f64 v[114:115], v[56:57], s[14:15], v[114:115]
	v_fma_f64 v[116:117], v[58:59], s[14:15], -v[116:117]
	v_fma_f64 v[199:200], v[56:57], s[6:7], -v[118:119]
	v_fma_f64 v[201:202], v[58:59], s[6:7], v[120:121]
	;; [unrolled: 4-line block ×5, first 2 shown]
	v_fma_f64 v[209:210], v[60:61], s[0:1], -v[130:131]
	v_fma_f64 v[130:131], v[60:61], s[0:1], v[130:131]
	v_fma_f64 v[211:212], v[60:61], s[8:9], -v[139:140]
	v_fma_f64 v[139:140], v[60:61], s[8:9], v[139:140]
	v_fma_f64 v[213:214], v[62:63], s[14:15], v[128:129]
	v_fma_f64 v[128:129], v[62:63], s[14:15], -v[128:129]
	v_fma_f64 v[215:216], v[62:63], s[0:1], v[137:138]
	v_fma_f64 v[137:138], v[62:63], s[0:1], -v[137:138]
	;; [unrolled: 2-line block ×3, first 2 shown]
	v_fma_f64 v[219:220], v[70:71], s[8:9], -v[143:144]
	v_fma_f64 v[143:144], v[70:71], s[8:9], v[143:144]
	v_fma_f64 v[221:222], v[70:71], s[6:7], -v[145:146]
	v_fma_f64 v[145:146], v[70:71], s[6:7], v[145:146]
	;; [unrolled: 2-line block ×4, first 2 shown]
	v_fma_f64 v[227:228], v[74:75], s[8:9], v[151:152]
	v_fma_f64 v[151:152], v[74:75], s[8:9], -v[151:152]
	v_fma_f64 v[229:230], v[74:75], s[6:7], v[153:154]
	v_fma_f64 v[153:154], v[74:75], s[6:7], -v[153:154]
	;; [unrolled: 2-line block ×4, first 2 shown]
	v_fma_f64 v[235:236], v[80:81], s[14:15], -v[159:160]
	v_fma_f64 v[159:160], v[80:81], s[14:15], v[159:160]
	v_fma_f64 v[237:238], v[80:81], s[0:1], -v[161:162]
	v_fma_f64 v[161:162], v[80:81], s[0:1], v[161:162]
	;; [unrolled: 2-line block ×4, first 2 shown]
	v_fma_f64 v[16:17], v[86:87], s[14:15], v[167:168]
	v_fma_f64 v[167:168], v[86:87], s[14:15], -v[167:168]
	v_fma_f64 v[243:244], v[86:87], s[0:1], v[169:170]
	v_fma_f64 v[169:170], v[86:87], s[0:1], -v[169:170]
	;; [unrolled: 2-line block ×4, first 2 shown]
	v_fma_f64 v[26:27], v[60:61], s[4:5], -v[66:67]
	v_fma_f64 v[60:61], v[60:61], s[4:5], v[66:67]
	v_fma_f64 v[66:67], v[62:63], s[4:5], v[64:65]
	v_fma_f64 v[62:63], v[62:63], s[4:5], -v[64:65]
	v_fma_f64 v[64:65], v[70:71], s[4:5], -v[68:69]
	v_fma_f64 v[68:69], v[70:71], s[4:5], v[68:69]
	v_fma_f64 v[70:71], v[74:75], s[4:5], v[72:73]
	v_fma_f64 v[72:73], v[74:75], s[4:5], -v[72:73]
	;; [unrolled: 4-line block ×3, first 2 shown]
	v_add_f64 v[86:87], v[4:5], v[93:94]
	v_add_f64 v[93:94], v[4:5], v[179:180]
	;; [unrolled: 1-line block ×104, first 2 shown]
	v_mad_u32_u24 v48, 0x8f0, v249, 0
	v_lshlrev_b32_sdwa v49, v132, v101 dst_sel:DWORD dst_unused:UNUSED_PAD src0_sel:DWORD src1_sel:BYTE_0
	v_cmp_gt_u32_e64 s0, 0x41, v92
	v_add3_u32 v48, v48, v49, v135
	ds_write_b128 v48, v[24:27] offset:208
	ds_write_b128 v48, v[28:31] offset:416
	;; [unrolled: 1-line block ×10, first 2 shown]
	ds_write_b128 v48, v[44:47]
	s_waitcnt lgkmcnt(0)
	s_barrier
	buffer_gl0_inv
	ds_read_b128 v[24:27], v136
	ds_read_b128 v[36:39], v134 offset:2288
	ds_read_b128 v[28:31], v134 offset:4576
	;; [unrolled: 1-line block ×5, first 2 shown]
	s_and_saveexec_b32 s1, s0
	s_cbranch_execz .LBB0_24
; %bb.23:
	ds_read_b128 v[4:7], v134 offset:1248
	ds_read_b128 v[8:11], v134 offset:3536
	;; [unrolled: 1-line block ×6, first 2 shown]
.LBB0_24:
	s_or_b32 exec_lo, exec_lo, s1
	v_mul_u32_u24_e32 v48, 5, v92
	s_mov_b32 s4, 0xe8584caa
	s_mov_b32 s5, 0x3febb67a
	;; [unrolled: 1-line block ×4, first 2 shown]
	v_lshlrev_b32_e32 v48, 4, v48
	v_add_co_u32 v48, s1, s12, v48
	v_add_co_ci_u32_e64 v49, null, s13, 0, s1
	v_add_co_u32 v64, s1, 0x820, v48
	v_add_co_ci_u32_e64 v65, s1, 0, v49, s1
	v_add_co_u32 v56, s1, 0x800, v48
	v_add_co_ci_u32_e64 v57, s1, 0, v49, s1
	s_clause 0x4
	global_load_dwordx4 v[48:51], v[64:65], off offset:32
	global_load_dwordx4 v[52:55], v[56:57], off offset:96
	;; [unrolled: 1-line block ×5, first 2 shown]
	s_waitcnt vmcnt(0) lgkmcnt(0)
	s_barrier
	buffer_gl0_inv
	v_mul_f64 v[68:69], v[42:43], v[50:51]
	v_mul_f64 v[50:51], v[40:41], v[50:51]
	;; [unrolled: 1-line block ×6, first 2 shown]
	v_fma_f64 v[40:41], v[40:41], v[48:49], -v[68:69]
	v_fma_f64 v[42:43], v[42:43], v[48:49], v[50:51]
	v_fma_f64 v[46:47], v[46:47], v[52:53], v[70:71]
	v_fma_f64 v[44:45], v[44:45], v[52:53], -v[54:55]
	v_mul_f64 v[48:49], v[30:31], v[62:63]
	v_mul_f64 v[50:51], v[28:29], v[62:63]
	;; [unrolled: 1-line block ×4, first 2 shown]
	v_fma_f64 v[36:37], v[36:37], v[56:57], -v[72:73]
	v_fma_f64 v[38:39], v[38:39], v[56:57], v[58:59]
	v_add_f64 v[56:57], v[42:43], v[46:47]
	v_add_f64 v[58:59], v[40:41], v[44:45]
	v_fma_f64 v[28:29], v[28:29], v[60:61], -v[48:49]
	v_fma_f64 v[30:31], v[30:31], v[60:61], v[50:51]
	v_fma_f64 v[32:33], v[32:33], v[64:65], -v[52:53]
	v_fma_f64 v[34:35], v[34:35], v[64:65], v[54:55]
	v_add_f64 v[48:49], v[42:43], -v[46:47]
	v_add_f64 v[50:51], v[40:41], -v[44:45]
	v_fma_f64 v[52:53], v[56:57], -0.5, v[38:39]
	v_fma_f64 v[54:55], v[58:59], -0.5, v[36:37]
	v_add_f64 v[36:37], v[36:37], v[40:41]
	v_add_f64 v[38:39], v[38:39], v[42:43]
	;; [unrolled: 1-line block ×4, first 2 shown]
	v_fma_f64 v[60:61], v[50:51], s[6:7], v[52:53]
	v_fma_f64 v[62:63], v[48:49], s[6:7], v[54:55]
	;; [unrolled: 1-line block ×4, first 2 shown]
	v_add_f64 v[52:53], v[24:25], v[28:29]
	v_add_f64 v[54:55], v[30:31], -v[34:35]
	v_add_f64 v[30:31], v[26:27], v[30:31]
	v_fma_f64 v[24:25], v[56:57], -0.5, v[24:25]
	v_add_f64 v[28:29], v[28:29], -v[32:33]
	v_fma_f64 v[26:27], v[58:59], -0.5, v[26:27]
	v_mul_f64 v[40:41], v[60:61], s[4:5]
	v_mul_f64 v[42:43], v[62:63], -0.5
	v_mul_f64 v[56:57], v[48:49], s[6:7]
	v_mul_f64 v[58:59], v[50:51], -0.5
	v_add_f64 v[32:33], v[52:53], v[32:33]
	v_add_f64 v[34:35], v[30:31], v[34:35]
	;; [unrolled: 1-line block ×4, first 2 shown]
	v_fma_f64 v[44:45], v[54:55], s[4:5], v[24:25]
	v_fma_f64 v[52:53], v[28:29], s[6:7], v[26:27]
	;; [unrolled: 1-line block ×4, first 2 shown]
	v_fma_f64 v[46:47], v[48:49], 0.5, v[40:41]
	v_fma_f64 v[48:49], v[50:51], s[4:5], v[42:43]
	v_fma_f64 v[50:51], v[60:61], 0.5, v[56:57]
	v_fma_f64 v[56:57], v[62:63], s[6:7], v[58:59]
	v_add_f64 v[26:27], v[32:33], v[30:31]
	v_add_f64 v[28:29], v[34:35], v[36:37]
	v_add_f64 v[30:31], v[32:33], -v[30:31]
	v_add_f64 v[32:33], v[34:35], -v[36:37]
	v_add_f64 v[34:35], v[44:45], v[46:47]
	v_add_f64 v[38:39], v[24:25], v[48:49]
	;; [unrolled: 1-line block ×4, first 2 shown]
	v_add_f64 v[42:43], v[44:45], -v[46:47]
	v_add_f64 v[44:45], v[52:53], -v[50:51]
	;; [unrolled: 1-line block ×4, first 2 shown]
	v_mov_b32_e32 v25, 0
	ds_write_b128 v134, v[26:29]
	ds_write_b128 v134, v[30:33] offset:6864
	ds_write_b128 v134, v[34:37] offset:2288
	;; [unrolled: 1-line block ×5, first 2 shown]
	s_and_saveexec_b32 s1, s0
	s_cbranch_execz .LBB0_26
; %bb.25:
	v_add_nc_u32_e32 v24, 0x4e, v92
	v_add_nc_u32_e32 v26, 0xffffffbf, v92
	v_cndmask_b32_e64 v24, v26, v24, s0
	v_mul_i32_i24_e32 v24, 5, v24
	v_lshlrev_b64 v[24:25], 4, v[24:25]
	v_add_co_u32 v24, s0, s12, v24
	v_add_co_ci_u32_e64 v25, s0, s13, v25, s0
	v_add_co_u32 v40, s0, 0x820, v24
	v_add_co_ci_u32_e64 v41, s0, 0, v25, s0
	;; [unrolled: 2-line block ×3, first 2 shown]
	s_clause 0x4
	global_load_dwordx4 v[24:27], v[40:41], off offset:32
	global_load_dwordx4 v[28:31], v[32:33], off offset:96
	;; [unrolled: 1-line block ×5, first 2 shown]
	s_waitcnt vmcnt(4)
	v_mul_f64 v[44:45], v[22:23], v[26:27]
	v_mul_f64 v[26:27], v[20:21], v[26:27]
	s_waitcnt vmcnt(3)
	v_mul_f64 v[46:47], v[0:1], v[30:31]
	v_mul_f64 v[30:31], v[2:3], v[30:31]
	;; [unrolled: 3-line block ×3, first 2 shown]
	v_fma_f64 v[20:21], v[20:21], v[24:25], -v[44:45]
	v_fma_f64 v[22:23], v[22:23], v[24:25], v[26:27]
	v_fma_f64 v[2:3], v[2:3], v[28:29], v[46:47]
	v_fma_f64 v[0:1], v[0:1], v[28:29], -v[30:31]
	s_waitcnt vmcnt(1)
	v_mul_f64 v[24:25], v[14:15], v[38:39]
	v_mul_f64 v[26:27], v[12:13], v[38:39]
	s_waitcnt vmcnt(0)
	v_mul_f64 v[28:29], v[16:17], v[42:43]
	v_fma_f64 v[8:9], v[8:9], v[32:33], -v[48:49]
	v_fma_f64 v[10:11], v[10:11], v[32:33], v[34:35]
	v_mul_f64 v[34:35], v[18:19], v[42:43]
	v_add_f64 v[30:31], v[22:23], v[2:3]
	v_add_f64 v[32:33], v[20:21], v[0:1]
	v_fma_f64 v[12:13], v[12:13], v[36:37], -v[24:25]
	v_fma_f64 v[14:15], v[14:15], v[36:37], v[26:27]
	v_fma_f64 v[18:19], v[18:19], v[40:41], v[28:29]
	v_add_f64 v[24:25], v[22:23], -v[2:3]
	v_add_f64 v[26:27], v[20:21], -v[0:1]
	v_fma_f64 v[16:17], v[16:17], v[40:41], -v[34:35]
	v_fma_f64 v[28:29], v[30:31], -0.5, v[10:11]
	v_fma_f64 v[30:31], v[32:33], -0.5, v[8:9]
	v_add_f64 v[10:11], v[10:11], v[22:23]
	v_add_f64 v[8:9], v[8:9], v[20:21]
	;; [unrolled: 1-line block ×4, first 2 shown]
	v_fma_f64 v[34:35], v[26:27], s[4:5], v[28:29]
	v_fma_f64 v[36:37], v[24:25], s[4:5], v[30:31]
	;; [unrolled: 1-line block ×4, first 2 shown]
	v_add_f64 v[28:29], v[12:13], -v[16:17]
	v_add_f64 v[30:31], v[6:7], v[14:15]
	v_add_f64 v[12:13], v[4:5], v[12:13]
	v_fma_f64 v[6:7], v[32:33], -0.5, v[6:7]
	v_add_f64 v[14:15], v[14:15], -v[18:19]
	v_fma_f64 v[4:5], v[38:39], -0.5, v[4:5]
	v_add_f64 v[10:11], v[10:11], v[2:3]
	v_add_f64 v[8:9], v[8:9], v[0:1]
	v_mul_f64 v[20:21], v[34:35], -0.5
	v_mul_f64 v[22:23], v[36:37], s[6:7]
	v_mul_f64 v[32:33], v[26:27], s[4:5]
	v_mul_f64 v[38:39], v[24:25], -0.5
	v_add_f64 v[18:19], v[30:31], v[18:19]
	v_add_f64 v[12:13], v[12:13], v[16:17]
	v_fma_f64 v[16:17], v[28:29], s[4:5], v[6:7]
	v_fma_f64 v[28:29], v[28:29], s[6:7], v[6:7]
	;; [unrolled: 1-line block ×3, first 2 shown]
	v_fma_f64 v[22:23], v[26:27], 0.5, v[22:23]
	v_fma_f64 v[26:27], v[14:15], s[4:5], v[4:5]
	v_fma_f64 v[30:31], v[36:37], 0.5, v[32:33]
	v_fma_f64 v[24:25], v[14:15], s[6:7], v[4:5]
	v_fma_f64 v[32:33], v[34:35], s[4:5], v[38:39]
	v_add_f64 v[6:7], v[18:19], v[10:11]
	v_add_f64 v[4:5], v[12:13], v[8:9]
	v_add_f64 v[2:3], v[18:19], -v[10:11]
	v_add_f64 v[0:1], v[12:13], -v[8:9]
	;; [unrolled: 1-line block ×4, first 2 shown]
	v_add_f64 v[18:19], v[16:17], v[20:21]
	v_add_f64 v[22:23], v[28:29], v[22:23]
	;; [unrolled: 1-line block ×4, first 2 shown]
	v_add_f64 v[12:13], v[26:27], -v[30:31]
	v_add_f64 v[8:9], v[24:25], -v[32:33]
	ds_write_b128 v134, v[4:7] offset:1248
	ds_write_b128 v134, v[0:3] offset:8112
	ds_write_b128 v134, v[20:23] offset:3536
	ds_write_b128 v134, v[16:19] offset:5824
	ds_write_b128 v134, v[12:15] offset:10400
	ds_write_b128 v134, v[8:11] offset:12688
.LBB0_26:
	s_or_b32 exec_lo, exec_lo, s1
	s_waitcnt lgkmcnt(0)
	s_barrier
	buffer_gl0_inv
	s_and_saveexec_b32 s0, vcc_lo
	s_cbranch_execz .LBB0_28
; %bb.27:
	v_mul_lo_u32 v2, s3, v90
	v_mul_lo_u32 v3, s2, v91
	v_mad_u64_u32 v[0:1], null, s2, v90, 0
	v_lshl_add_u32 v28, v92, 4, v133
	v_mov_b32_e32 v93, 0
	v_lshlrev_b64 v[8:9], 4, v[88:89]
	v_add_nc_u32_e32 v12, 0x4e, v92
	v_add_nc_u32_e32 v22, 0x186, v92
	;; [unrolled: 1-line block ×3, first 2 shown]
	v_add3_u32 v1, v1, v3, v2
	v_mov_b32_e32 v13, v93
	v_lshlrev_b64 v[14:15], 4, v[92:93]
	v_mov_b32_e32 v23, v93
	v_mov_b32_e32 v25, v93
	v_lshlrev_b64 v[10:11], 4, v[0:1]
	ds_read_b128 v[0:3], v28
	ds_read_b128 v[4:7], v28 offset:1248
	v_lshlrev_b64 v[22:23], 4, v[22:23]
	v_add_co_u32 v10, vcc_lo, s10, v10
	v_add_co_ci_u32_e32 v11, vcc_lo, s11, v11, vcc_lo
	v_add_co_u32 v30, vcc_lo, v10, v8
	v_add_co_ci_u32_e32 v31, vcc_lo, v11, v9, vcc_lo
	v_lshlrev_b64 v[8:9], 4, v[12:13]
	v_add_co_u32 v10, vcc_lo, v30, v14
	v_add_co_ci_u32_e32 v11, vcc_lo, v31, v15, vcc_lo
	v_add_nc_u32_e32 v12, 0x9c, v92
	v_add_co_u32 v8, vcc_lo, v30, v8
	v_add_co_ci_u32_e32 v9, vcc_lo, v31, v9, vcc_lo
	s_waitcnt lgkmcnt(1)
	global_store_dwordx4 v[10:11], v[0:3], off
	s_waitcnt lgkmcnt(0)
	global_store_dwordx4 v[8:9], v[4:7], off
	v_lshlrev_b64 v[0:1], 4, v[12:13]
	v_add_nc_u32_e32 v8, 0xea, v92
	v_mov_b32_e32 v9, v93
	v_add_nc_u32_e32 v10, 0x138, v92
	v_mov_b32_e32 v11, v93
	v_add_co_u32 v16, vcc_lo, v30, v0
	v_add_co_ci_u32_e32 v17, vcc_lo, v31, v1, vcc_lo
	ds_read_b128 v[0:3], v28 offset:2496
	ds_read_b128 v[4:7], v28 offset:3744
	v_lshlrev_b64 v[18:19], 4, v[8:9]
	v_lshlrev_b64 v[20:21], 4, v[10:11]
	ds_read_b128 v[8:11], v28 offset:4992
	ds_read_b128 v[12:15], v28 offset:6240
	v_add_co_u32 v18, vcc_lo, v30, v18
	v_add_co_ci_u32_e32 v19, vcc_lo, v31, v19, vcc_lo
	v_add_co_u32 v20, vcc_lo, v30, v20
	v_add_co_ci_u32_e32 v21, vcc_lo, v31, v21, vcc_lo
	v_add_co_u32 v22, vcc_lo, v30, v22
	s_waitcnt lgkmcnt(3)
	global_store_dwordx4 v[16:17], v[0:3], off
	s_waitcnt lgkmcnt(2)
	global_store_dwordx4 v[18:19], v[4:7], off
	v_add_nc_u32_e32 v2, 0x222, v92
	v_mov_b32_e32 v3, v93
	v_add_co_ci_u32_e32 v23, vcc_lo, v31, v23, vcc_lo
	v_lshlrev_b64 v[0:1], 4, v[24:25]
	s_waitcnt lgkmcnt(1)
	global_store_dwordx4 v[20:21], v[8:11], off
	s_waitcnt lgkmcnt(0)
	global_store_dwordx4 v[22:23], v[12:15], off
	v_lshlrev_b64 v[8:9], 4, v[2:3]
	v_add_nc_u32_e32 v10, 0x270, v92
	v_mov_b32_e32 v11, v93
	v_add_co_u32 v20, vcc_lo, v30, v0
	v_add_co_ci_u32_e32 v21, vcc_lo, v31, v1, vcc_lo
	v_add_co_u32 v22, vcc_lo, v30, v8
	ds_read_b128 v[0:3], v28 offset:7488
	ds_read_b128 v[4:7], v28 offset:8736
	v_add_co_ci_u32_e32 v23, vcc_lo, v31, v9, vcc_lo
	v_lshlrev_b64 v[26:27], 4, v[10:11]
	ds_read_b128 v[8:11], v28 offset:9984
	ds_read_b128 v[12:15], v28 offset:11232
	;; [unrolled: 1-line block ×3, first 2 shown]
	v_add_nc_u32_e32 v24, 0x2be, v92
	v_add_nc_u32_e32 v92, 0x30c, v92
	v_add_co_u32 v26, vcc_lo, v30, v26
	v_lshlrev_b64 v[24:25], 4, v[24:25]
	v_lshlrev_b64 v[28:29], 4, v[92:93]
	v_add_co_ci_u32_e32 v27, vcc_lo, v31, v27, vcc_lo
	v_add_co_u32 v24, vcc_lo, v30, v24
	v_add_co_ci_u32_e32 v25, vcc_lo, v31, v25, vcc_lo
	v_add_co_u32 v28, vcc_lo, v30, v28
	v_add_co_ci_u32_e32 v29, vcc_lo, v31, v29, vcc_lo
	s_waitcnt lgkmcnt(4)
	global_store_dwordx4 v[20:21], v[0:3], off
	s_waitcnt lgkmcnt(3)
	global_store_dwordx4 v[22:23], v[4:7], off
	;; [unrolled: 2-line block ×5, first 2 shown]
.LBB0_28:
	s_endpgm
	.section	.rodata,"a",@progbits
	.p2align	6, 0x0
	.amdhsa_kernel fft_rtc_fwd_len858_factors_13_11_6_wgs_234_tpt_78_halfLds_dp_op_CI_CI_unitstride_sbrr_C2R_dirReg
		.amdhsa_group_segment_fixed_size 0
		.amdhsa_private_segment_fixed_size 0
		.amdhsa_kernarg_size 104
		.amdhsa_user_sgpr_count 6
		.amdhsa_user_sgpr_private_segment_buffer 1
		.amdhsa_user_sgpr_dispatch_ptr 0
		.amdhsa_user_sgpr_queue_ptr 0
		.amdhsa_user_sgpr_kernarg_segment_ptr 1
		.amdhsa_user_sgpr_dispatch_id 0
		.amdhsa_user_sgpr_flat_scratch_init 0
		.amdhsa_user_sgpr_private_segment_size 0
		.amdhsa_wavefront_size32 1
		.amdhsa_uses_dynamic_stack 0
		.amdhsa_system_sgpr_private_segment_wavefront_offset 0
		.amdhsa_system_sgpr_workgroup_id_x 1
		.amdhsa_system_sgpr_workgroup_id_y 0
		.amdhsa_system_sgpr_workgroup_id_z 0
		.amdhsa_system_sgpr_workgroup_info 0
		.amdhsa_system_vgpr_workitem_id 0
		.amdhsa_next_free_vgpr 250
		.amdhsa_next_free_sgpr 44
		.amdhsa_reserve_vcc 1
		.amdhsa_reserve_flat_scratch 0
		.amdhsa_float_round_mode_32 0
		.amdhsa_float_round_mode_16_64 0
		.amdhsa_float_denorm_mode_32 3
		.amdhsa_float_denorm_mode_16_64 3
		.amdhsa_dx10_clamp 1
		.amdhsa_ieee_mode 1
		.amdhsa_fp16_overflow 0
		.amdhsa_workgroup_processor_mode 1
		.amdhsa_memory_ordered 1
		.amdhsa_forward_progress 0
		.amdhsa_shared_vgpr_count 0
		.amdhsa_exception_fp_ieee_invalid_op 0
		.amdhsa_exception_fp_denorm_src 0
		.amdhsa_exception_fp_ieee_div_zero 0
		.amdhsa_exception_fp_ieee_overflow 0
		.amdhsa_exception_fp_ieee_underflow 0
		.amdhsa_exception_fp_ieee_inexact 0
		.amdhsa_exception_int_div_zero 0
	.end_amdhsa_kernel
	.text
.Lfunc_end0:
	.size	fft_rtc_fwd_len858_factors_13_11_6_wgs_234_tpt_78_halfLds_dp_op_CI_CI_unitstride_sbrr_C2R_dirReg, .Lfunc_end0-fft_rtc_fwd_len858_factors_13_11_6_wgs_234_tpt_78_halfLds_dp_op_CI_CI_unitstride_sbrr_C2R_dirReg
                                        ; -- End function
	.section	.AMDGPU.csdata,"",@progbits
; Kernel info:
; codeLenInByte = 12452
; NumSgprs: 46
; NumVgprs: 250
; ScratchSize: 0
; MemoryBound: 0
; FloatMode: 240
; IeeeMode: 1
; LDSByteSize: 0 bytes/workgroup (compile time only)
; SGPRBlocks: 5
; VGPRBlocks: 31
; NumSGPRsForWavesPerEU: 46
; NumVGPRsForWavesPerEU: 250
; Occupancy: 4
; WaveLimiterHint : 1
; COMPUTE_PGM_RSRC2:SCRATCH_EN: 0
; COMPUTE_PGM_RSRC2:USER_SGPR: 6
; COMPUTE_PGM_RSRC2:TRAP_HANDLER: 0
; COMPUTE_PGM_RSRC2:TGID_X_EN: 1
; COMPUTE_PGM_RSRC2:TGID_Y_EN: 0
; COMPUTE_PGM_RSRC2:TGID_Z_EN: 0
; COMPUTE_PGM_RSRC2:TIDIG_COMP_CNT: 0
	.text
	.p2alignl 6, 3214868480
	.fill 48, 4, 3214868480
	.type	__hip_cuid_2ad4c03c5e42d457,@object ; @__hip_cuid_2ad4c03c5e42d457
	.section	.bss,"aw",@nobits
	.globl	__hip_cuid_2ad4c03c5e42d457
__hip_cuid_2ad4c03c5e42d457:
	.byte	0                               ; 0x0
	.size	__hip_cuid_2ad4c03c5e42d457, 1

	.ident	"AMD clang version 19.0.0git (https://github.com/RadeonOpenCompute/llvm-project roc-6.4.0 25133 c7fe45cf4b819c5991fe208aaa96edf142730f1d)"
	.section	".note.GNU-stack","",@progbits
	.addrsig
	.addrsig_sym __hip_cuid_2ad4c03c5e42d457
	.amdgpu_metadata
---
amdhsa.kernels:
  - .args:
      - .actual_access:  read_only
        .address_space:  global
        .offset:         0
        .size:           8
        .value_kind:     global_buffer
      - .offset:         8
        .size:           8
        .value_kind:     by_value
      - .actual_access:  read_only
        .address_space:  global
        .offset:         16
        .size:           8
        .value_kind:     global_buffer
      - .actual_access:  read_only
        .address_space:  global
        .offset:         24
        .size:           8
        .value_kind:     global_buffer
      - .actual_access:  read_only
        .address_space:  global
        .offset:         32
        .size:           8
        .value_kind:     global_buffer
      - .offset:         40
        .size:           8
        .value_kind:     by_value
      - .actual_access:  read_only
        .address_space:  global
        .offset:         48
        .size:           8
        .value_kind:     global_buffer
      - .actual_access:  read_only
        .address_space:  global
        .offset:         56
        .size:           8
        .value_kind:     global_buffer
      - .offset:         64
        .size:           4
        .value_kind:     by_value
      - .actual_access:  read_only
        .address_space:  global
        .offset:         72
        .size:           8
        .value_kind:     global_buffer
      - .actual_access:  read_only
        .address_space:  global
        .offset:         80
        .size:           8
        .value_kind:     global_buffer
      - .actual_access:  read_only
        .address_space:  global
        .offset:         88
        .size:           8
        .value_kind:     global_buffer
      - .actual_access:  write_only
        .address_space:  global
        .offset:         96
        .size:           8
        .value_kind:     global_buffer
    .group_segment_fixed_size: 0
    .kernarg_segment_align: 8
    .kernarg_segment_size: 104
    .language:       OpenCL C
    .language_version:
      - 2
      - 0
    .max_flat_workgroup_size: 234
    .name:           fft_rtc_fwd_len858_factors_13_11_6_wgs_234_tpt_78_halfLds_dp_op_CI_CI_unitstride_sbrr_C2R_dirReg
    .private_segment_fixed_size: 0
    .sgpr_count:     46
    .sgpr_spill_count: 0
    .symbol:         fft_rtc_fwd_len858_factors_13_11_6_wgs_234_tpt_78_halfLds_dp_op_CI_CI_unitstride_sbrr_C2R_dirReg.kd
    .uniform_work_group_size: 1
    .uses_dynamic_stack: false
    .vgpr_count:     250
    .vgpr_spill_count: 0
    .wavefront_size: 32
    .workgroup_processor_mode: 1
amdhsa.target:   amdgcn-amd-amdhsa--gfx1030
amdhsa.version:
  - 1
  - 2
...

	.end_amdgpu_metadata
